;; amdgpu-corpus repo=zjin-lcf/HeCBench kind=compiled arch=gfx1250 opt=O3
	.amdgcn_target "amdgcn-amd-amdhsa--gfx1250"
	.amdhsa_code_object_version 6
	.text
	.protected	_Z34MerklizeRescuePrimeApproach1Phase0mPKmPmPK15HIP_vector_typeImLj4EES5_S5_ ; -- Begin function _Z34MerklizeRescuePrimeApproach1Phase0mPKmPmPK15HIP_vector_typeImLj4EES5_S5_
	.globl	_Z34MerklizeRescuePrimeApproach1Phase0mPKmPmPK15HIP_vector_typeImLj4EES5_S5_
	.p2align	8
	.type	_Z34MerklizeRescuePrimeApproach1Phase0mPKmPmPK15HIP_vector_typeImLj4EES5_S5_,@function
_Z34MerklizeRescuePrimeApproach1Phase0mPKmPmPK15HIP_vector_typeImLj4EES5_S5_: ; @_Z34MerklizeRescuePrimeApproach1Phase0mPKmPmPK15HIP_vector_typeImLj4EES5_S5_
; %bb.0:
	s_mov_b64 s[10:11], s[6:7]
	s_clause 0x1
	s_load_b32 s6, s[4:5], 0x3c
	s_load_b128 s[20:23], s[4:5], 0x20
	s_bfe_u32 s8, ttmp6, 0x4000c
	v_dual_mov_b32 v31, v0 :: v_dual_mov_b32 v1, 0
	s_add_co_i32 s8, s8, 1
	s_load_b256 s[12:19], s[4:5], 0x0
	s_and_b32 s7, ttmp6, 15
	s_mul_i32 s8, ttmp9, s8
	s_getreg_b32 s9, hwreg(HW_REG_IB_STS2, 6, 4)
	v_and_b32_e32 v0, 0x3ff, v31
	s_add_co_i32 s7, s7, s8
	s_mov_b32 s32, 0
	s_wait_kmcnt 0x0
	s_and_b32 s6, s6, 0xffff
	s_cmp_eq_u32 s9, 0
	v_dual_mov_b32 v6, s20 :: v_dual_mov_b32 v7, s21
	s_cselect_b32 s7, ttmp9, s7
	v_dual_mov_b32 v8, s22 :: v_dual_mov_b32 v9, s23
	v_mad_u32 v0, s7, s6, v0
	v_dual_mov_b32 v4, s18 :: v_dual_mov_b32 v5, s19
	s_add_nc_u64 s[8:9], s[4:5], 48
	s_mov_b64 s[4:5], s[0:1]
	s_mov_b64 s[6:7], s[2:3]
	s_delay_alu instid0(VALU_DEP_2) | instskip(SKIP_3) | instid1(VALU_DEP_2)
	v_add_nc_u64_e32 v[2:3], s[12:13], v[0:1]
	v_lshl_add_u64 v[0:1], v[0:1], 4, s[14:15]
	s_get_pc_i64 s[12:13]
	s_add_nc_u64 s[12:13], s[12:13], _Z5mergePKmPmPK15HIP_vector_typeImLj4EES5_S5_@rel64+4
	v_lshlrev_b64_e32 v[2:3], 5, v[2:3]
	s_delay_alu instid0(VALU_DEP_1)
	v_add_nc_u64_e32 v[2:3], s[16:17], v[2:3]
	s_swap_pc_i64 s[30:31], s[12:13]
	s_endpgm
	.section	.rodata,"a",@progbits
	.p2align	6, 0x0
	.amdhsa_kernel _Z34MerklizeRescuePrimeApproach1Phase0mPKmPmPK15HIP_vector_typeImLj4EES5_S5_
		.amdhsa_group_segment_fixed_size 0
		.amdhsa_private_segment_fixed_size 0
		.amdhsa_kernarg_size 304
		.amdhsa_user_sgpr_count 8
		.amdhsa_user_sgpr_dispatch_ptr 1
		.amdhsa_user_sgpr_queue_ptr 1
		.amdhsa_user_sgpr_kernarg_segment_ptr 1
		.amdhsa_user_sgpr_dispatch_id 1
		.amdhsa_user_sgpr_kernarg_preload_length 0
		.amdhsa_user_sgpr_kernarg_preload_offset 0
		.amdhsa_user_sgpr_private_segment_size 0
		.amdhsa_wavefront_size32 1
		.amdhsa_uses_dynamic_stack 1
		.amdhsa_enable_private_segment 1
		.amdhsa_system_sgpr_workgroup_id_x 1
		.amdhsa_system_sgpr_workgroup_id_y 1
		.amdhsa_system_sgpr_workgroup_id_z 1
		.amdhsa_system_sgpr_workgroup_info 0
		.amdhsa_system_vgpr_workitem_id 2
		.amdhsa_next_free_vgpr max(totalnumvgprs(_Z34MerklizeRescuePrimeApproach1Phase0mPKmPmPK15HIP_vector_typeImLj4EES5_S5_.num_agpr, _Z34MerklizeRescuePrimeApproach1Phase0mPKmPmPK15HIP_vector_typeImLj4EES5_S5_.num_vgpr), 1, 0)
		.amdhsa_next_free_sgpr max(_Z34MerklizeRescuePrimeApproach1Phase0mPKmPmPK15HIP_vector_typeImLj4EES5_S5_.numbered_sgpr+2, 1, 0)-2
		.amdhsa_named_barrier_count (((((alignto(_Z34MerklizeRescuePrimeApproach1Phase0mPKmPmPK15HIP_vector_typeImLj4EES5_S5_.num_named_barrier, 4)/4)<<14)&~4080)|32)&114688)>>14
		.amdhsa_reserve_vcc 1
		.amdhsa_float_round_mode_32 0
		.amdhsa_float_round_mode_16_64 0
		.amdhsa_float_denorm_mode_32 3
		.amdhsa_float_denorm_mode_16_64 3
		.amdhsa_fp16_overflow 0
		.amdhsa_memory_ordered 1
		.amdhsa_forward_progress 1
		.amdhsa_inst_pref_size 2
		.amdhsa_round_robin_scheduling 0
		.amdhsa_exception_fp_ieee_invalid_op 0
		.amdhsa_exception_fp_denorm_src 0
		.amdhsa_exception_fp_ieee_div_zero 0
		.amdhsa_exception_fp_ieee_overflow 0
		.amdhsa_exception_fp_ieee_underflow 0
		.amdhsa_exception_fp_ieee_inexact 0
		.amdhsa_exception_int_div_zero 0
	.end_amdhsa_kernel
	.text
.Lfunc_end0:
	.size	_Z34MerklizeRescuePrimeApproach1Phase0mPKmPmPK15HIP_vector_typeImLj4EES5_S5_, .Lfunc_end0-_Z34MerklizeRescuePrimeApproach1Phase0mPKmPmPK15HIP_vector_typeImLj4EES5_S5_
                                        ; -- End function
	.set _Z34MerklizeRescuePrimeApproach1Phase0mPKmPmPK15HIP_vector_typeImLj4EES5_S5_.num_vgpr, max(32, amdgpu.max_num_vgpr)
	.set _Z34MerklizeRescuePrimeApproach1Phase0mPKmPmPK15HIP_vector_typeImLj4EES5_S5_.num_agpr, max(0, amdgpu.max_num_agpr)
	.set _Z34MerklizeRescuePrimeApproach1Phase0mPKmPmPK15HIP_vector_typeImLj4EES5_S5_.numbered_sgpr, max(33, amdgpu.max_num_sgpr)
	.set _Z34MerklizeRescuePrimeApproach1Phase0mPKmPmPK15HIP_vector_typeImLj4EES5_S5_.num_named_barrier, max(0, amdgpu.max_num_named_barrier)
	.set _Z34MerklizeRescuePrimeApproach1Phase0mPKmPmPK15HIP_vector_typeImLj4EES5_S5_.private_seg_size, 0
	.set _Z34MerklizeRescuePrimeApproach1Phase0mPKmPmPK15HIP_vector_typeImLj4EES5_S5_.uses_vcc, 1
	.set _Z34MerklizeRescuePrimeApproach1Phase0mPKmPmPK15HIP_vector_typeImLj4EES5_S5_.uses_flat_scratch, 1
	.set _Z34MerklizeRescuePrimeApproach1Phase0mPKmPmPK15HIP_vector_typeImLj4EES5_S5_.has_dyn_sized_stack, 1
	.set _Z34MerklizeRescuePrimeApproach1Phase0mPKmPmPK15HIP_vector_typeImLj4EES5_S5_.has_recursion, 1
	.set _Z34MerklizeRescuePrimeApproach1Phase0mPKmPmPK15HIP_vector_typeImLj4EES5_S5_.has_indirect_call, 1
	.section	.AMDGPU.csdata,"",@progbits
; Kernel info:
; codeLenInByte = 200
; TotalNumSgprs: _Z34MerklizeRescuePrimeApproach1Phase0mPKmPmPK15HIP_vector_typeImLj4EES5_S5_.numbered_sgpr+2
; NumVgprs: _Z34MerklizeRescuePrimeApproach1Phase0mPKmPmPK15HIP_vector_typeImLj4EES5_S5_.num_vgpr
; ScratchSize: 0
; MemoryBound: 0
; FloatMode: 240
; IeeeMode: 1
; LDSByteSize: 0 bytes/workgroup (compile time only)
; SGPRBlocks: 0
; VGPRBlocks: (alignto(max(max(totalnumvgprs(_Z34MerklizeRescuePrimeApproach1Phase0mPKmPmPK15HIP_vector_typeImLj4EES5_S5_.num_agpr, _Z34MerklizeRescuePrimeApproach1Phase0mPKmPmPK15HIP_vector_typeImLj4EES5_S5_.num_vgpr), 1, 0), 1), 16)/16)-1
; NumSGPRsForWavesPerEU: max(_Z34MerklizeRescuePrimeApproach1Phase0mPKmPmPK15HIP_vector_typeImLj4EES5_S5_.numbered_sgpr+2, 1, 0)
; NumVGPRsForWavesPerEU: max(totalnumvgprs(_Z34MerklizeRescuePrimeApproach1Phase0mPKmPmPK15HIP_vector_typeImLj4EES5_S5_.num_agpr, _Z34MerklizeRescuePrimeApproach1Phase0mPKmPmPK15HIP_vector_typeImLj4EES5_S5_.num_vgpr), 1, 0)
; NamedBarCnt: alignto(_Z34MerklizeRescuePrimeApproach1Phase0mPKmPmPK15HIP_vector_typeImLj4EES5_S5_.num_named_barrier, 4)/4
; Occupancy: occupancy(16, 16, 1024, 11, 16, max(_Z34MerklizeRescuePrimeApproach1Phase0mPKmPmPK15HIP_vector_typeImLj4EES5_S5_.numbered_sgpr+extrasgprs(_Z34MerklizeRescuePrimeApproach1Phase0mPKmPmPK15HIP_vector_typeImLj4EES5_S5_.uses_vcc, _Z34MerklizeRescuePrimeApproach1Phase0mPKmPmPK15HIP_vector_typeImLj4EES5_S5_.uses_flat_scratch, 1), 1, 0), max(totalnumvgprs(_Z34MerklizeRescuePrimeApproach1Phase0mPKmPmPK15HIP_vector_typeImLj4EES5_S5_.num_agpr, _Z34MerklizeRescuePrimeApproach1Phase0mPKmPmPK15HIP_vector_typeImLj4EES5_S5_.num_vgpr), 1, 0))
; WaveLimiterHint : 0
; COMPUTE_PGM_RSRC2:SCRATCH_EN: 1
; COMPUTE_PGM_RSRC2:USER_SGPR: 8
; COMPUTE_PGM_RSRC2:TRAP_HANDLER: 0
; COMPUTE_PGM_RSRC2:TGID_X_EN: 1
; COMPUTE_PGM_RSRC2:TGID_Y_EN: 1
; COMPUTE_PGM_RSRC2:TGID_Z_EN: 1
; COMPUTE_PGM_RSRC2:TIDIG_COMP_CNT: 2
	.text
	.protected	_Z34MerklizeRescuePrimeApproach1Phase1mPmPK15HIP_vector_typeImLj4EES3_S3_ ; -- Begin function _Z34MerklizeRescuePrimeApproach1Phase1mPmPK15HIP_vector_typeImLj4EES3_S3_
	.globl	_Z34MerklizeRescuePrimeApproach1Phase1mPmPK15HIP_vector_typeImLj4EES3_S3_
	.p2align	8
	.type	_Z34MerklizeRescuePrimeApproach1Phase1mPmPK15HIP_vector_typeImLj4EES3_S3_,@function
_Z34MerklizeRescuePrimeApproach1Phase1mPmPK15HIP_vector_typeImLj4EES3_S3_: ; @_Z34MerklizeRescuePrimeApproach1Phase1mPmPK15HIP_vector_typeImLj4EES3_S3_
; %bb.0:
	s_mov_b64 s[10:11], s[6:7]
	s_load_b32 s6, s[4:5], 0x34
	s_bfe_u32 s8, ttmp6, 0x4000c
	v_dual_mov_b32 v31, v0 :: v_dual_mov_b32 v1, 0
	s_add_co_i32 s8, s8, 1
	s_load_b256 s[12:19], s[4:5], 0x0
	s_and_b32 s7, ttmp6, 15
	s_mul_i32 s8, ttmp9, s8
	s_getreg_b32 s9, hwreg(HW_REG_IB_STS2, 6, 4)
	v_and_b32_e32 v0, 0x3ff, v31
	s_add_co_i32 s7, s7, s8
	s_get_pc_i64 s[20:21]
	s_add_nc_u64 s[20:21], s[20:21], _Z5mergePKmPmPK15HIP_vector_typeImLj4EES5_S5_@rel64+4
	s_mov_b32 s32, 0
	s_wait_kmcnt 0x0
	s_and_b32 s6, s6, 0xffff
	s_cmp_eq_u32 s9, 0
	s_add_nc_u64 s[8:9], s[4:5], 40
	s_cselect_b32 s7, ttmp9, s7
	s_delay_alu instid0(SALU_CYCLE_1) | instskip(SKIP_3) | instid1(VALU_DEP_3)
	v_mad_u32 v0, s7, s6, v0
	s_load_b64 s[6:7], s[4:5], 0x20
	v_dual_mov_b32 v4, s16 :: v_dual_mov_b32 v5, s17
	v_dual_mov_b32 v6, s18 :: v_dual_mov_b32 v7, s19
	v_add_nc_u64_e32 v[2:3], s[12:13], v[0:1]
	s_lshl_b64 s[12:13], s[12:13], 6
	s_wait_xcnt 0x0
	s_add_nc_u64 s[4:5], s[14:15], s[12:13]
	s_delay_alu instid0(SALU_CYCLE_1) | instskip(SKIP_1) | instid1(VALU_DEP_2)
	v_lshl_add_u64 v[0:1], v[0:1], 4, s[4:5]
	s_mov_b64 s[4:5], s[0:1]
	v_lshlrev_b64_e32 v[2:3], 5, v[2:3]
	s_wait_kmcnt 0x0
	v_dual_mov_b32 v8, s6 :: v_dual_mov_b32 v9, s7
	s_mov_b64 s[6:7], s[2:3]
	s_delay_alu instid0(VALU_DEP_2)
	v_add_nc_u64_e32 v[2:3], s[14:15], v[2:3]
	s_swap_pc_i64 s[30:31], s[20:21]
	s_endpgm
	.section	.rodata,"a",@progbits
	.p2align	6, 0x0
	.amdhsa_kernel _Z34MerklizeRescuePrimeApproach1Phase1mPmPK15HIP_vector_typeImLj4EES3_S3_
		.amdhsa_group_segment_fixed_size 0
		.amdhsa_private_segment_fixed_size 0
		.amdhsa_kernarg_size 296
		.amdhsa_user_sgpr_count 8
		.amdhsa_user_sgpr_dispatch_ptr 1
		.amdhsa_user_sgpr_queue_ptr 1
		.amdhsa_user_sgpr_kernarg_segment_ptr 1
		.amdhsa_user_sgpr_dispatch_id 1
		.amdhsa_user_sgpr_kernarg_preload_length 0
		.amdhsa_user_sgpr_kernarg_preload_offset 0
		.amdhsa_user_sgpr_private_segment_size 0
		.amdhsa_wavefront_size32 1
		.amdhsa_uses_dynamic_stack 1
		.amdhsa_enable_private_segment 1
		.amdhsa_system_sgpr_workgroup_id_x 1
		.amdhsa_system_sgpr_workgroup_id_y 1
		.amdhsa_system_sgpr_workgroup_id_z 1
		.amdhsa_system_sgpr_workgroup_info 0
		.amdhsa_system_vgpr_workitem_id 2
		.amdhsa_next_free_vgpr max(totalnumvgprs(_Z34MerklizeRescuePrimeApproach1Phase1mPmPK15HIP_vector_typeImLj4EES3_S3_.num_agpr, _Z34MerklizeRescuePrimeApproach1Phase1mPmPK15HIP_vector_typeImLj4EES3_S3_.num_vgpr), 1, 0)
		.amdhsa_next_free_sgpr max(_Z34MerklizeRescuePrimeApproach1Phase1mPmPK15HIP_vector_typeImLj4EES3_S3_.numbered_sgpr+2, 1, 0)-2
		.amdhsa_named_barrier_count (((((alignto(_Z34MerklizeRescuePrimeApproach1Phase1mPmPK15HIP_vector_typeImLj4EES3_S3_.num_named_barrier, 4)/4)<<14)&~4080)|32)&114688)>>14
		.amdhsa_reserve_vcc 1
		.amdhsa_float_round_mode_32 0
		.amdhsa_float_round_mode_16_64 0
		.amdhsa_float_denorm_mode_32 3
		.amdhsa_float_denorm_mode_16_64 3
		.amdhsa_fp16_overflow 0
		.amdhsa_memory_ordered 1
		.amdhsa_forward_progress 1
		.amdhsa_inst_pref_size 2
		.amdhsa_round_robin_scheduling 0
		.amdhsa_exception_fp_ieee_invalid_op 0
		.amdhsa_exception_fp_denorm_src 0
		.amdhsa_exception_fp_ieee_div_zero 0
		.amdhsa_exception_fp_ieee_overflow 0
		.amdhsa_exception_fp_ieee_underflow 0
		.amdhsa_exception_fp_ieee_inexact 0
		.amdhsa_exception_int_div_zero 0
	.end_amdhsa_kernel
	.text
.Lfunc_end1:
	.size	_Z34MerklizeRescuePrimeApproach1Phase1mPmPK15HIP_vector_typeImLj4EES3_S3_, .Lfunc_end1-_Z34MerklizeRescuePrimeApproach1Phase1mPmPK15HIP_vector_typeImLj4EES3_S3_
                                        ; -- End function
	.set _Z34MerklizeRescuePrimeApproach1Phase1mPmPK15HIP_vector_typeImLj4EES3_S3_.num_vgpr, max(32, amdgpu.max_num_vgpr)
	.set _Z34MerklizeRescuePrimeApproach1Phase1mPmPK15HIP_vector_typeImLj4EES3_S3_.num_agpr, max(0, amdgpu.max_num_agpr)
	.set _Z34MerklizeRescuePrimeApproach1Phase1mPmPK15HIP_vector_typeImLj4EES3_S3_.numbered_sgpr, max(33, amdgpu.max_num_sgpr)
	.set _Z34MerklizeRescuePrimeApproach1Phase1mPmPK15HIP_vector_typeImLj4EES3_S3_.num_named_barrier, max(0, amdgpu.max_num_named_barrier)
	.set _Z34MerklizeRescuePrimeApproach1Phase1mPmPK15HIP_vector_typeImLj4EES3_S3_.private_seg_size, 0
	.set _Z34MerklizeRescuePrimeApproach1Phase1mPmPK15HIP_vector_typeImLj4EES3_S3_.uses_vcc, 1
	.set _Z34MerklizeRescuePrimeApproach1Phase1mPmPK15HIP_vector_typeImLj4EES3_S3_.uses_flat_scratch, 1
	.set _Z34MerklizeRescuePrimeApproach1Phase1mPmPK15HIP_vector_typeImLj4EES3_S3_.has_dyn_sized_stack, 1
	.set _Z34MerklizeRescuePrimeApproach1Phase1mPmPK15HIP_vector_typeImLj4EES3_S3_.has_recursion, 1
	.set _Z34MerklizeRescuePrimeApproach1Phase1mPmPK15HIP_vector_typeImLj4EES3_S3_.has_indirect_call, 1
	.section	.AMDGPU.csdata,"",@progbits
; Kernel info:
; codeLenInByte = 216
; TotalNumSgprs: _Z34MerklizeRescuePrimeApproach1Phase1mPmPK15HIP_vector_typeImLj4EES3_S3_.numbered_sgpr+2
; NumVgprs: _Z34MerklizeRescuePrimeApproach1Phase1mPmPK15HIP_vector_typeImLj4EES3_S3_.num_vgpr
; ScratchSize: 0
; MemoryBound: 0
; FloatMode: 240
; IeeeMode: 1
; LDSByteSize: 0 bytes/workgroup (compile time only)
; SGPRBlocks: 0
; VGPRBlocks: (alignto(max(max(totalnumvgprs(_Z34MerklizeRescuePrimeApproach1Phase1mPmPK15HIP_vector_typeImLj4EES3_S3_.num_agpr, _Z34MerklizeRescuePrimeApproach1Phase1mPmPK15HIP_vector_typeImLj4EES3_S3_.num_vgpr), 1, 0), 1), 16)/16)-1
; NumSGPRsForWavesPerEU: max(_Z34MerklizeRescuePrimeApproach1Phase1mPmPK15HIP_vector_typeImLj4EES3_S3_.numbered_sgpr+2, 1, 0)
; NumVGPRsForWavesPerEU: max(totalnumvgprs(_Z34MerklizeRescuePrimeApproach1Phase1mPmPK15HIP_vector_typeImLj4EES3_S3_.num_agpr, _Z34MerklizeRescuePrimeApproach1Phase1mPmPK15HIP_vector_typeImLj4EES3_S3_.num_vgpr), 1, 0)
; NamedBarCnt: alignto(_Z34MerklizeRescuePrimeApproach1Phase1mPmPK15HIP_vector_typeImLj4EES3_S3_.num_named_barrier, 4)/4
; Occupancy: occupancy(16, 16, 1024, 11, 16, max(_Z34MerklizeRescuePrimeApproach1Phase1mPmPK15HIP_vector_typeImLj4EES3_S3_.numbered_sgpr+extrasgprs(_Z34MerklizeRescuePrimeApproach1Phase1mPmPK15HIP_vector_typeImLj4EES3_S3_.uses_vcc, _Z34MerklizeRescuePrimeApproach1Phase1mPmPK15HIP_vector_typeImLj4EES3_S3_.uses_flat_scratch, 1), 1, 0), max(totalnumvgprs(_Z34MerklizeRescuePrimeApproach1Phase1mPmPK15HIP_vector_typeImLj4EES3_S3_.num_agpr, _Z34MerklizeRescuePrimeApproach1Phase1mPmPK15HIP_vector_typeImLj4EES3_S3_.num_vgpr), 1, 0))
; WaveLimiterHint : 0
; COMPUTE_PGM_RSRC2:SCRATCH_EN: 1
; COMPUTE_PGM_RSRC2:USER_SGPR: 8
; COMPUTE_PGM_RSRC2:TRAP_HANDLER: 0
; COMPUTE_PGM_RSRC2:TGID_X_EN: 1
; COMPUTE_PGM_RSRC2:TGID_Y_EN: 1
; COMPUTE_PGM_RSRC2:TGID_Z_EN: 1
; COMPUTE_PGM_RSRC2:TIDIG_COMP_CNT: 2
	.text
	.p2alignl 7, 3214868480
	.fill 96, 4, 3214868480
	.section	.AMDGPU.gpr_maximums,"",@progbits
	.set amdgpu.max_num_vgpr, 0
	.set amdgpu.max_num_agpr, 0
	.set amdgpu.max_num_sgpr, 0
	.text
	.type	__hip_cuid_3cb900cb22cb4256,@object ; @__hip_cuid_3cb900cb22cb4256
	.section	.bss,"aw",@nobits
	.globl	__hip_cuid_3cb900cb22cb4256
__hip_cuid_3cb900cb22cb4256:
	.byte	0                               ; 0x0
	.size	__hip_cuid_3cb900cb22cb4256, 1

	.hidden	_Z5mergePKmPmPK15HIP_vector_typeImLj4EES5_S5_
	.ident	"AMD clang version 22.0.0git (https://github.com/RadeonOpenCompute/llvm-project roc-7.2.4 26084 f58b06dce1f9c15707c5f808fd002e18c2accf7e)"
	.section	".note.GNU-stack","",@progbits
	.addrsig
	.addrsig_sym __hip_cuid_3cb900cb22cb4256
	.amdgpu_metadata
---
amdhsa.kernels:
  - .args:
      - .offset:         0
        .size:           8
        .value_kind:     by_value
      - .address_space:  global
        .offset:         8
        .size:           8
        .value_kind:     global_buffer
      - .address_space:  global
        .offset:         16
        .size:           8
        .value_kind:     global_buffer
      - .address_space:  global
        .offset:         24
        .size:           8
        .value_kind:     global_buffer
      - .address_space:  global
        .offset:         32
        .size:           8
        .value_kind:     global_buffer
      - .address_space:  global
        .offset:         40
        .size:           8
        .value_kind:     global_buffer
      - .offset:         48
        .size:           4
        .value_kind:     hidden_block_count_x
      - .offset:         52
        .size:           4
        .value_kind:     hidden_block_count_y
      - .offset:         56
        .size:           4
        .value_kind:     hidden_block_count_z
      - .offset:         60
        .size:           2
        .value_kind:     hidden_group_size_x
      - .offset:         62
        .size:           2
        .value_kind:     hidden_group_size_y
      - .offset:         64
        .size:           2
        .value_kind:     hidden_group_size_z
      - .offset:         66
        .size:           2
        .value_kind:     hidden_remainder_x
      - .offset:         68
        .size:           2
        .value_kind:     hidden_remainder_y
      - .offset:         70
        .size:           2
        .value_kind:     hidden_remainder_z
      - .offset:         88
        .size:           8
        .value_kind:     hidden_global_offset_x
      - .offset:         96
        .size:           8
        .value_kind:     hidden_global_offset_y
      - .offset:         104
        .size:           8
        .value_kind:     hidden_global_offset_z
      - .offset:         112
        .size:           2
        .value_kind:     hidden_grid_dims
      - .offset:         128
        .size:           8
        .value_kind:     hidden_hostcall_buffer
      - .offset:         136
        .size:           8
        .value_kind:     hidden_multigrid_sync_arg
      - .offset:         144
        .size:           8
        .value_kind:     hidden_heap_v1
      - .offset:         152
        .size:           8
        .value_kind:     hidden_default_queue
      - .offset:         160
        .size:           8
        .value_kind:     hidden_completion_action
      - .offset:         248
        .size:           8
        .value_kind:     hidden_queue_ptr
    .group_segment_fixed_size: 0
    .kernarg_segment_align: 8
    .kernarg_segment_size: 304
    .language:       OpenCL C
    .language_version:
      - 2
      - 0
    .max_flat_workgroup_size: 1024
    .name:           _Z34MerklizeRescuePrimeApproach1Phase0mPKmPmPK15HIP_vector_typeImLj4EES5_S5_
    .private_segment_fixed_size: 0
    .sgpr_count:     35
    .sgpr_spill_count: 0
    .symbol:         _Z34MerklizeRescuePrimeApproach1Phase0mPKmPmPK15HIP_vector_typeImLj4EES5_S5_.kd
    .uniform_work_group_size: 1
    .uses_dynamic_stack: true
    .vgpr_count:     32
    .vgpr_spill_count: 0
    .wavefront_size: 32
  - .args:
      - .offset:         0
        .size:           8
        .value_kind:     by_value
      - .address_space:  global
        .offset:         8
        .size:           8
        .value_kind:     global_buffer
      - .address_space:  global
        .offset:         16
        .size:           8
        .value_kind:     global_buffer
      - .address_space:  global
        .offset:         24
        .size:           8
        .value_kind:     global_buffer
      - .address_space:  global
        .offset:         32
        .size:           8
        .value_kind:     global_buffer
      - .offset:         40
        .size:           4
        .value_kind:     hidden_block_count_x
      - .offset:         44
        .size:           4
        .value_kind:     hidden_block_count_y
      - .offset:         48
        .size:           4
        .value_kind:     hidden_block_count_z
      - .offset:         52
        .size:           2
        .value_kind:     hidden_group_size_x
      - .offset:         54
        .size:           2
        .value_kind:     hidden_group_size_y
      - .offset:         56
        .size:           2
        .value_kind:     hidden_group_size_z
      - .offset:         58
        .size:           2
        .value_kind:     hidden_remainder_x
      - .offset:         60
        .size:           2
        .value_kind:     hidden_remainder_y
      - .offset:         62
        .size:           2
        .value_kind:     hidden_remainder_z
      - .offset:         80
        .size:           8
        .value_kind:     hidden_global_offset_x
      - .offset:         88
        .size:           8
        .value_kind:     hidden_global_offset_y
      - .offset:         96
        .size:           8
        .value_kind:     hidden_global_offset_z
      - .offset:         104
        .size:           2
        .value_kind:     hidden_grid_dims
      - .offset:         120
        .size:           8
        .value_kind:     hidden_hostcall_buffer
      - .offset:         128
        .size:           8
        .value_kind:     hidden_multigrid_sync_arg
      - .offset:         136
        .size:           8
        .value_kind:     hidden_heap_v1
      - .offset:         144
        .size:           8
        .value_kind:     hidden_default_queue
      - .offset:         152
        .size:           8
        .value_kind:     hidden_completion_action
      - .offset:         240
        .size:           8
        .value_kind:     hidden_queue_ptr
    .group_segment_fixed_size: 0
    .kernarg_segment_align: 8
    .kernarg_segment_size: 296
    .language:       OpenCL C
    .language_version:
      - 2
      - 0
    .max_flat_workgroup_size: 1024
    .name:           _Z34MerklizeRescuePrimeApproach1Phase1mPmPK15HIP_vector_typeImLj4EES3_S3_
    .private_segment_fixed_size: 0
    .sgpr_count:     35
    .sgpr_spill_count: 0
    .symbol:         _Z34MerklizeRescuePrimeApproach1Phase1mPmPK15HIP_vector_typeImLj4EES3_S3_.kd
    .uniform_work_group_size: 1
    .uses_dynamic_stack: true
    .vgpr_count:     32
    .vgpr_spill_count: 0
    .wavefront_size: 32
amdhsa.target:   amdgcn-amd-amdhsa--gfx1250
amdhsa.version:
  - 1
  - 2
...

	.end_amdgpu_metadata
